;; amdgpu-corpus repo=ROCm/rocFFT kind=compiled arch=gfx906 opt=O3
	.text
	.amdgcn_target "amdgcn-amd-amdhsa--gfx906"
	.amdhsa_code_object_version 6
	.protected	fft_rtc_back_len750_factors_10_5_3_5_wgs_250_tpt_250_halfLds_dp_op_CI_CI_unitstride_sbrr_R2C_dirReg ; -- Begin function fft_rtc_back_len750_factors_10_5_3_5_wgs_250_tpt_250_halfLds_dp_op_CI_CI_unitstride_sbrr_R2C_dirReg
	.globl	fft_rtc_back_len750_factors_10_5_3_5_wgs_250_tpt_250_halfLds_dp_op_CI_CI_unitstride_sbrr_R2C_dirReg
	.p2align	8
	.type	fft_rtc_back_len750_factors_10_5_3_5_wgs_250_tpt_250_halfLds_dp_op_CI_CI_unitstride_sbrr_R2C_dirReg,@function
fft_rtc_back_len750_factors_10_5_3_5_wgs_250_tpt_250_halfLds_dp_op_CI_CI_unitstride_sbrr_R2C_dirReg: ; @fft_rtc_back_len750_factors_10_5_3_5_wgs_250_tpt_250_halfLds_dp_op_CI_CI_unitstride_sbrr_R2C_dirReg
; %bb.0:
	s_load_dwordx4 s[8:11], s[4:5], 0x58
	s_load_dwordx4 s[12:15], s[4:5], 0x0
	;; [unrolled: 1-line block ×3, first 2 shown]
	v_mul_u32_u24_e32 v1, 0x107, v0
	v_add_u32_sdwa v5, s6, v1 dst_sel:DWORD dst_unused:UNUSED_PAD src0_sel:DWORD src1_sel:WORD_1
	v_mov_b32_e32 v3, 0
	s_waitcnt lgkmcnt(0)
	v_cmp_lt_u64_e64 s[0:1], s[14:15], 2
	v_mov_b32_e32 v1, 0
	v_mov_b32_e32 v6, v3
	s_and_b64 vcc, exec, s[0:1]
	v_mov_b32_e32 v2, 0
	s_cbranch_vccnz .LBB0_8
; %bb.1:
	s_load_dwordx2 s[0:1], s[4:5], 0x10
	s_add_u32 s2, s18, 8
	s_addc_u32 s3, s19, 0
	s_add_u32 s6, s16, 8
	v_mov_b32_e32 v1, 0
	s_addc_u32 s7, s17, 0
	v_mov_b32_e32 v2, 0
	s_waitcnt lgkmcnt(0)
	s_add_u32 s20, s0, 8
	v_mov_b32_e32 v21, v2
	s_addc_u32 s21, s1, 0
	s_mov_b64 s[22:23], 1
	v_mov_b32_e32 v20, v1
.LBB0_2:                                ; =>This Inner Loop Header: Depth=1
	s_load_dwordx2 s[24:25], s[20:21], 0x0
                                        ; implicit-def: $vgpr22_vgpr23
	s_waitcnt lgkmcnt(0)
	v_or_b32_e32 v4, s25, v6
	v_cmp_ne_u64_e32 vcc, 0, v[3:4]
	s_and_saveexec_b64 s[0:1], vcc
	s_xor_b64 s[26:27], exec, s[0:1]
	s_cbranch_execz .LBB0_4
; %bb.3:                                ;   in Loop: Header=BB0_2 Depth=1
	v_cvt_f32_u32_e32 v4, s24
	v_cvt_f32_u32_e32 v7, s25
	s_sub_u32 s0, 0, s24
	s_subb_u32 s1, 0, s25
	v_mac_f32_e32 v4, 0x4f800000, v7
	v_rcp_f32_e32 v4, v4
	v_mul_f32_e32 v4, 0x5f7ffffc, v4
	v_mul_f32_e32 v7, 0x2f800000, v4
	v_trunc_f32_e32 v7, v7
	v_mac_f32_e32 v4, 0xcf800000, v7
	v_cvt_u32_f32_e32 v7, v7
	v_cvt_u32_f32_e32 v4, v4
	v_mul_lo_u32 v8, s0, v7
	v_mul_hi_u32 v9, s0, v4
	v_mul_lo_u32 v11, s1, v4
	v_mul_lo_u32 v10, s0, v4
	v_add_u32_e32 v8, v9, v8
	v_add_u32_e32 v8, v8, v11
	v_mul_hi_u32 v9, v4, v10
	v_mul_lo_u32 v11, v4, v8
	v_mul_hi_u32 v13, v4, v8
	v_mul_hi_u32 v12, v7, v10
	v_mul_lo_u32 v10, v7, v10
	v_mul_hi_u32 v14, v7, v8
	v_add_co_u32_e32 v9, vcc, v9, v11
	v_addc_co_u32_e32 v11, vcc, 0, v13, vcc
	v_mul_lo_u32 v8, v7, v8
	v_add_co_u32_e32 v9, vcc, v9, v10
	v_addc_co_u32_e32 v9, vcc, v11, v12, vcc
	v_addc_co_u32_e32 v10, vcc, 0, v14, vcc
	v_add_co_u32_e32 v8, vcc, v9, v8
	v_addc_co_u32_e32 v9, vcc, 0, v10, vcc
	v_add_co_u32_e32 v4, vcc, v4, v8
	v_addc_co_u32_e32 v7, vcc, v7, v9, vcc
	v_mul_lo_u32 v8, s0, v7
	v_mul_hi_u32 v9, s0, v4
	v_mul_lo_u32 v10, s1, v4
	v_mul_lo_u32 v11, s0, v4
	v_add_u32_e32 v8, v9, v8
	v_add_u32_e32 v8, v8, v10
	v_mul_lo_u32 v12, v4, v8
	v_mul_hi_u32 v13, v4, v11
	v_mul_hi_u32 v14, v4, v8
	v_mul_hi_u32 v10, v7, v11
	v_mul_lo_u32 v11, v7, v11
	v_mul_hi_u32 v9, v7, v8
	v_add_co_u32_e32 v12, vcc, v13, v12
	v_addc_co_u32_e32 v13, vcc, 0, v14, vcc
	v_mul_lo_u32 v8, v7, v8
	v_add_co_u32_e32 v11, vcc, v12, v11
	v_addc_co_u32_e32 v10, vcc, v13, v10, vcc
	v_addc_co_u32_e32 v9, vcc, 0, v9, vcc
	v_add_co_u32_e32 v8, vcc, v10, v8
	v_addc_co_u32_e32 v9, vcc, 0, v9, vcc
	v_add_co_u32_e32 v4, vcc, v4, v8
	v_addc_co_u32_e32 v9, vcc, v7, v9, vcc
	v_mad_u64_u32 v[7:8], s[0:1], v5, v9, 0
	v_mul_hi_u32 v10, v5, v4
	v_add_co_u32_e32 v11, vcc, v10, v7
	v_addc_co_u32_e32 v12, vcc, 0, v8, vcc
	v_mad_u64_u32 v[7:8], s[0:1], v6, v4, 0
	v_mad_u64_u32 v[9:10], s[0:1], v6, v9, 0
	v_add_co_u32_e32 v4, vcc, v11, v7
	v_addc_co_u32_e32 v4, vcc, v12, v8, vcc
	v_addc_co_u32_e32 v7, vcc, 0, v10, vcc
	v_add_co_u32_e32 v4, vcc, v4, v9
	v_addc_co_u32_e32 v9, vcc, 0, v7, vcc
	v_mul_lo_u32 v10, s25, v4
	v_mul_lo_u32 v11, s24, v9
	v_mad_u64_u32 v[7:8], s[0:1], s24, v4, 0
	v_add3_u32 v8, v8, v11, v10
	v_sub_u32_e32 v10, v6, v8
	v_mov_b32_e32 v11, s25
	v_sub_co_u32_e32 v7, vcc, v5, v7
	v_subb_co_u32_e64 v10, s[0:1], v10, v11, vcc
	v_subrev_co_u32_e64 v11, s[0:1], s24, v7
	v_subbrev_co_u32_e64 v10, s[0:1], 0, v10, s[0:1]
	v_cmp_le_u32_e64 s[0:1], s25, v10
	v_cndmask_b32_e64 v12, 0, -1, s[0:1]
	v_cmp_le_u32_e64 s[0:1], s24, v11
	v_cndmask_b32_e64 v11, 0, -1, s[0:1]
	v_cmp_eq_u32_e64 s[0:1], s25, v10
	v_cndmask_b32_e64 v10, v12, v11, s[0:1]
	v_add_co_u32_e64 v11, s[0:1], 2, v4
	v_addc_co_u32_e64 v12, s[0:1], 0, v9, s[0:1]
	v_add_co_u32_e64 v13, s[0:1], 1, v4
	v_addc_co_u32_e64 v14, s[0:1], 0, v9, s[0:1]
	v_subb_co_u32_e32 v8, vcc, v6, v8, vcc
	v_cmp_ne_u32_e64 s[0:1], 0, v10
	v_cmp_le_u32_e32 vcc, s25, v8
	v_cndmask_b32_e64 v10, v14, v12, s[0:1]
	v_cndmask_b32_e64 v12, 0, -1, vcc
	v_cmp_le_u32_e32 vcc, s24, v7
	v_cndmask_b32_e64 v7, 0, -1, vcc
	v_cmp_eq_u32_e32 vcc, s25, v8
	v_cndmask_b32_e32 v7, v12, v7, vcc
	v_cmp_ne_u32_e32 vcc, 0, v7
	v_cndmask_b32_e64 v7, v13, v11, s[0:1]
	v_cndmask_b32_e32 v23, v9, v10, vcc
	v_cndmask_b32_e32 v22, v4, v7, vcc
.LBB0_4:                                ;   in Loop: Header=BB0_2 Depth=1
	s_andn2_saveexec_b64 s[0:1], s[26:27]
	s_cbranch_execz .LBB0_6
; %bb.5:                                ;   in Loop: Header=BB0_2 Depth=1
	v_cvt_f32_u32_e32 v4, s24
	s_sub_i32 s26, 0, s24
	v_mov_b32_e32 v23, v3
	v_rcp_iflag_f32_e32 v4, v4
	v_mul_f32_e32 v4, 0x4f7ffffe, v4
	v_cvt_u32_f32_e32 v4, v4
	v_mul_lo_u32 v7, s26, v4
	v_mul_hi_u32 v7, v4, v7
	v_add_u32_e32 v4, v4, v7
	v_mul_hi_u32 v4, v5, v4
	v_mul_lo_u32 v7, v4, s24
	v_add_u32_e32 v8, 1, v4
	v_sub_u32_e32 v7, v5, v7
	v_subrev_u32_e32 v9, s24, v7
	v_cmp_le_u32_e32 vcc, s24, v7
	v_cndmask_b32_e32 v7, v7, v9, vcc
	v_cndmask_b32_e32 v4, v4, v8, vcc
	v_add_u32_e32 v8, 1, v4
	v_cmp_le_u32_e32 vcc, s24, v7
	v_cndmask_b32_e32 v22, v4, v8, vcc
.LBB0_6:                                ;   in Loop: Header=BB0_2 Depth=1
	s_or_b64 exec, exec, s[0:1]
	v_mul_lo_u32 v4, v23, s24
	v_mul_lo_u32 v9, v22, s25
	v_mad_u64_u32 v[7:8], s[0:1], v22, s24, 0
	s_load_dwordx2 s[0:1], s[6:7], 0x0
	s_load_dwordx2 s[24:25], s[2:3], 0x0
	v_add3_u32 v4, v8, v9, v4
	v_sub_co_u32_e32 v5, vcc, v5, v7
	v_subb_co_u32_e32 v4, vcc, v6, v4, vcc
	s_waitcnt lgkmcnt(0)
	v_mul_lo_u32 v6, s0, v4
	v_mul_lo_u32 v7, s1, v5
	v_mad_u64_u32 v[1:2], s[0:1], s0, v5, v[1:2]
	v_mul_lo_u32 v4, s24, v4
	v_mul_lo_u32 v8, s25, v5
	v_mad_u64_u32 v[20:21], s[0:1], s24, v5, v[20:21]
	s_add_u32 s22, s22, 1
	s_addc_u32 s23, s23, 0
	s_add_u32 s2, s2, 8
	v_add3_u32 v21, v8, v21, v4
	s_addc_u32 s3, s3, 0
	v_mov_b32_e32 v4, s14
	s_add_u32 s6, s6, 8
	v_mov_b32_e32 v5, s15
	s_addc_u32 s7, s7, 0
	v_cmp_ge_u64_e32 vcc, s[22:23], v[4:5]
	s_add_u32 s20, s20, 8
	v_add3_u32 v2, v7, v2, v6
	s_addc_u32 s21, s21, 0
	s_cbranch_vccnz .LBB0_9
; %bb.7:                                ;   in Loop: Header=BB0_2 Depth=1
	v_mov_b32_e32 v5, v22
	v_mov_b32_e32 v6, v23
	s_branch .LBB0_2
.LBB0_8:
	v_mov_b32_e32 v21, v2
	v_mov_b32_e32 v23, v6
	;; [unrolled: 1-line block ×4, first 2 shown]
.LBB0_9:
	s_load_dwordx2 s[4:5], s[4:5], 0x28
	s_lshl_b64 s[6:7], s[14:15], 3
	s_add_u32 s2, s18, s6
	s_addc_u32 s3, s19, s7
                                        ; implicit-def: $vgpr24
	s_waitcnt lgkmcnt(0)
	v_cmp_gt_u64_e64 s[0:1], s[4:5], v[22:23]
	v_cmp_le_u64_e32 vcc, s[4:5], v[22:23]
	s_and_saveexec_b64 s[4:5], vcc
	s_xor_b64 s[4:5], exec, s[4:5]
; %bb.10:
	s_mov_b32 s14, 0x10624de
	v_mul_hi_u32 v1, v0, s14
	v_mul_u32_u24_e32 v1, 0xfa, v1
	v_sub_u32_e32 v24, v0, v1
                                        ; implicit-def: $vgpr0
                                        ; implicit-def: $vgpr1_vgpr2
; %bb.11:
	s_andn2_saveexec_b64 s[4:5], s[4:5]
	s_cbranch_execz .LBB0_13
; %bb.12:
	s_add_u32 s6, s16, s6
	s_addc_u32 s7, s17, s7
	s_load_dwordx2 s[6:7], s[6:7], 0x0
	s_mov_b32 s14, 0x10624de
	v_mul_hi_u32 v5, v0, s14
	s_waitcnt lgkmcnt(0)
	v_mul_lo_u32 v6, s7, v22
	v_mul_lo_u32 v7, s6, v23
	v_mad_u64_u32 v[3:4], s[6:7], s6, v22, 0
	v_mul_u32_u24_e32 v5, 0xfa, v5
	v_sub_u32_e32 v24, v0, v5
	v_add3_u32 v4, v4, v7, v6
	v_lshlrev_b64 v[3:4], 4, v[3:4]
	v_mov_b32_e32 v0, s9
	v_add_co_u32_e32 v3, vcc, s8, v3
	v_addc_co_u32_e32 v4, vcc, v0, v4, vcc
	v_lshlrev_b64 v[0:1], 4, v[1:2]
	v_lshlrev_b32_e32 v12, 4, v24
	v_add_co_u32_e32 v0, vcc, v3, v0
	v_addc_co_u32_e32 v1, vcc, v4, v1, vcc
	v_add_co_u32_e32 v8, vcc, v0, v12
	v_addc_co_u32_e32 v9, vcc, 0, v1, vcc
	global_load_dwordx4 v[0:3], v[8:9], off
	global_load_dwordx4 v[4:7], v[8:9], off offset:4000
	v_add_co_u32_e32 v8, vcc, 0x1000, v8
	v_addc_co_u32_e32 v9, vcc, 0, v9, vcc
	global_load_dwordx4 v[8:11], v[8:9], off offset:3904
	v_add_u32_e32 v12, 0, v12
	s_waitcnt vmcnt(2)
	ds_write_b128 v12, v[0:3]
	s_waitcnt vmcnt(1)
	ds_write_b128 v12, v[4:7] offset:4000
	s_waitcnt vmcnt(0)
	ds_write_b128 v12, v[8:11] offset:8000
.LBB0_13:
	s_or_b64 exec, exec, s[4:5]
	v_lshl_add_u32 v65, v24, 4, 0
	s_waitcnt lgkmcnt(0)
	s_barrier
	ds_read_b128 v[0:3], v65 offset:7200
	ds_read_b128 v[4:7], v65 offset:4800
	;; [unrolled: 1-line block ×6, first 2 shown]
	ds_read_b128 v[33:36], v65
	ds_read_b128 v[45:48], v65 offset:3600
	ds_read_b128 v[49:52], v65 offset:10800
	s_mov_b32 s16, 0x134454ff
	s_waitcnt lgkmcnt(7)
	v_add_f64 v[25:26], v[4:5], v[0:1]
	s_waitcnt lgkmcnt(3)
	v_add_f64 v[37:38], v[31:32], -v[18:19]
	s_mov_b32 s17, 0xbfee6f0e
	s_mov_b32 s5, 0x3fee6f0e
	;; [unrolled: 1-line block ×3, first 2 shown]
	v_add_f64 v[39:40], v[6:7], -v[2:3]
	v_add_f64 v[27:28], v[29:30], -v[4:5]
	;; [unrolled: 1-line block ×3, first 2 shown]
	s_waitcnt lgkmcnt(2)
	v_fma_f64 v[25:26], v[25:26], -0.5, v[33:34]
	v_add_f64 v[57:58], v[29:30], v[16:17]
	s_mov_b32 s14, 0x4755a5e
	s_mov_b32 s15, 0xbfe2cf23
	;; [unrolled: 1-line block ×4, first 2 shown]
	v_add_f64 v[59:60], v[6:7], v[2:3]
	v_add_f64 v[27:28], v[27:28], v[41:42]
	v_fma_f64 v[43:44], v[37:38], s[16:17], v[25:26]
	v_fma_f64 v[25:26], v[37:38], s[4:5], v[25:26]
	v_fma_f64 v[57:58], v[57:58], -0.5, v[33:34]
	v_add_f64 v[61:62], v[31:32], v[18:19]
	s_mov_b32 s8, 0x372fe950
	s_mov_b32 s9, 0x3fd3c6ef
	v_add_f64 v[33:34], v[33:34], v[29:30]
	v_add_f64 v[63:64], v[0:1], -v[16:17]
	v_fma_f64 v[41:42], v[39:40], s[14:15], v[43:44]
	v_fma_f64 v[43:44], v[39:40], s[6:7], v[25:26]
	v_fma_f64 v[59:60], v[59:60], -0.5, v[35:36]
	v_add_f64 v[66:67], v[8:9], v[12:13]
	ds_read_b128 v[53:56], v65 offset:1200
	s_waitcnt lgkmcnt(1)
	v_add_f64 v[70:71], v[12:13], -v[49:50]
	v_add_f64 v[33:34], v[33:34], v[4:5]
	s_mov_b32 s18, 0x9b97f4a8
	v_fma_f64 v[25:26], v[27:28], s[8:9], v[41:42]
	v_add_f64 v[41:42], v[4:5], -v[29:30]
	v_fma_f64 v[27:28], v[27:28], s[8:9], v[43:44]
	v_fma_f64 v[43:44], v[39:40], s[4:5], v[57:58]
	;; [unrolled: 1-line block ×3, first 2 shown]
	v_add_f64 v[57:58], v[35:36], v[31:32]
	v_fma_f64 v[35:36], v[61:62], -0.5, v[35:36]
	v_add_f64 v[61:62], v[29:30], -v[16:17]
	v_add_f64 v[4:5], v[4:5], -v[0:1]
	v_add_f64 v[41:42], v[41:42], v[63:64]
	v_add_f64 v[63:64], v[18:19], -v[2:3]
	v_fma_f64 v[29:30], v[37:38], s[14:15], v[43:44]
	v_fma_f64 v[37:38], v[37:38], s[6:7], v[39:40]
	v_add_f64 v[39:40], v[31:32], -v[6:7]
	v_add_f64 v[43:44], v[6:7], -v[31:32]
	v_add_f64 v[6:7], v[57:58], v[6:7]
	v_fma_f64 v[57:58], v[61:62], s[4:5], v[59:60]
	v_fma_f64 v[59:60], v[61:62], s[16:17], v[59:60]
	v_add_f64 v[0:1], v[33:34], v[0:1]
	v_fma_f64 v[29:30], v[41:42], s[8:9], v[29:30]
	v_fma_f64 v[31:32], v[41:42], s[8:9], v[37:38]
	v_add_f64 v[39:40], v[39:40], v[63:64]
	v_fma_f64 v[63:64], v[4:5], s[16:17], v[35:36]
	v_add_f64 v[6:7], v[6:7], v[2:3]
	v_fma_f64 v[37:38], v[4:5], s[6:7], v[57:58]
	v_fma_f64 v[41:42], v[4:5], s[14:15], v[59:60]
	s_waitcnt lgkmcnt(0)
	v_fma_f64 v[57:58], v[66:67], -0.5, v[53:54]
	v_add_f64 v[59:60], v[47:48], -v[51:52]
	v_add_f64 v[2:3], v[2:3], -v[18:19]
	v_add_f64 v[33:34], v[0:1], v[16:17]
	v_fma_f64 v[0:1], v[4:5], s[4:5], v[35:36]
	v_add_f64 v[35:36], v[6:7], v[18:19]
	v_add_f64 v[4:5], v[45:46], -v[8:9]
	v_add_f64 v[6:7], v[49:50], -v[12:13]
	;; [unrolled: 1-line block ×3, first 2 shown]
	v_fma_f64 v[16:17], v[59:60], s[16:17], v[57:58]
	v_fma_f64 v[57:58], v[59:60], s[4:5], v[57:58]
	v_add_f64 v[66:67], v[45:46], v[49:50]
	v_fma_f64 v[63:64], v[61:62], s[6:7], v[63:64]
	v_add_f64 v[2:3], v[43:44], v[2:3]
	v_fma_f64 v[0:1], v[61:62], s[14:15], v[0:1]
	v_add_f64 v[4:5], v[4:5], v[6:7]
	v_add_f64 v[61:62], v[10:11], v[14:15]
	v_fma_f64 v[6:7], v[18:19], s[14:15], v[16:17]
	v_fma_f64 v[16:17], v[18:19], s[6:7], v[57:58]
	;; [unrolled: 1-line block ×3, first 2 shown]
	v_fma_f64 v[57:58], v[66:67], -0.5, v[53:54]
	v_fma_f64 v[41:42], v[39:40], s[8:9], v[41:42]
	v_fma_f64 v[39:40], v[2:3], s[8:9], v[63:64]
	v_add_f64 v[63:64], v[47:48], v[51:52]
	v_fma_f64 v[43:44], v[2:3], s[8:9], v[0:1]
	v_fma_f64 v[0:1], v[4:5], s[8:9], v[6:7]
	;; [unrolled: 1-line block ×3, first 2 shown]
	v_fma_f64 v[6:7], v[61:62], -0.5, v[55:56]
	v_add_f64 v[16:17], v[45:46], -v[49:50]
	v_fma_f64 v[4:5], v[18:19], s[4:5], v[57:58]
	v_fma_f64 v[18:19], v[18:19], s[16:17], v[57:58]
	v_fma_f64 v[57:58], v[63:64], -0.5, v[55:56]
	v_add_f64 v[61:62], v[47:48], -v[10:11]
	v_add_f64 v[63:64], v[51:52], -v[14:15]
	;; [unrolled: 1-line block ×3, first 2 shown]
	v_add_f64 v[53:54], v[53:54], v[45:46]
	v_fma_f64 v[68:69], v[16:17], s[4:5], v[6:7]
	v_add_f64 v[55:56], v[55:56], v[47:48]
	v_add_f64 v[45:46], v[8:9], -v[45:46]
	v_add_f64 v[47:48], v[10:11], -v[47:48]
	v_fma_f64 v[6:7], v[16:17], s[16:17], v[6:7]
	v_add_f64 v[61:62], v[61:62], v[63:64]
	v_add_f64 v[63:64], v[14:15], -v[51:52]
	v_fma_f64 v[72:73], v[66:67], s[16:17], v[57:58]
	v_fma_f64 v[57:58], v[66:67], s[4:5], v[57:58]
	;; [unrolled: 1-line block ×3, first 2 shown]
	v_add_f64 v[8:9], v[53:54], v[8:9]
	v_add_f64 v[53:54], v[45:46], v[70:71]
	v_add_f64 v[10:11], v[55:56], v[10:11]
	v_fma_f64 v[6:7], v[66:67], s[14:15], v[6:7]
	v_add_f64 v[45:46], v[47:48], v[63:64]
	v_fma_f64 v[47:48], v[16:17], s[6:7], v[72:73]
	v_fma_f64 v[16:17], v[16:17], s[14:15], v[57:58]
	;; [unrolled: 1-line block ×3, first 2 shown]
	v_add_f64 v[8:9], v[8:9], v[12:13]
	v_fma_f64 v[12:13], v[59:60], s[6:7], v[18:19]
	v_add_f64 v[10:11], v[10:11], v[14:15]
	v_fma_f64 v[6:7], v[61:62], s[8:9], v[6:7]
	v_fma_f64 v[4:5], v[59:60], s[14:15], v[4:5]
	;; [unrolled: 1-line block ×4, first 2 shown]
	v_mul_f64 v[18:19], v[55:56], s[14:15]
	s_mov_b32 s19, 0x3fe9e377
	v_add_f64 v[45:46], v[8:9], v[49:50]
	v_fma_f64 v[8:9], v[53:54], s[8:9], v[12:13]
	v_add_f64 v[49:50], v[10:11], v[51:52]
	v_fma_f64 v[4:5], v[53:54], s[8:9], v[4:5]
	v_mul_f64 v[10:11], v[14:15], s[16:17]
	v_mul_f64 v[12:13], v[16:17], s[16:17]
	v_fma_f64 v[47:48], v[0:1], s[18:19], v[18:19]
	s_mov_b32 s17, 0xbfd3c6ef
	s_mov_b32 s16, s8
	v_mul_f64 v[18:19], v[6:7], s[14:15]
	s_mov_b32 s15, 0xbfe9e377
	s_mov_b32 s14, s18
	v_mul_f64 v[0:1], v[0:1], s[6:7]
	v_mul_f64 v[14:15], v[14:15], s[8:9]
	;; [unrolled: 1-line block ×4, first 2 shown]
	v_fma_f64 v[51:52], v[4:5], s[8:9], v[10:11]
	v_fma_f64 v[57:58], v[2:3], s[14:15], v[18:19]
	s_barrier
	v_fma_f64 v[53:54], v[55:56], s[18:19], v[0:1]
	v_fma_f64 v[55:56], v[8:9], s[16:17], v[12:13]
	;; [unrolled: 1-line block ×5, first 2 shown]
	v_add_f64 v[0:1], v[33:34], v[45:46]
	v_add_f64 v[4:5], v[25:26], v[47:48]
	;; [unrolled: 1-line block ×10, first 2 shown]
	s_movk_i32 s4, 0x4b
	v_cmp_gt_u32_e32 vcc, s4, v24
	s_and_saveexec_b64 s[4:5], vcc
	s_cbranch_execz .LBB0_15
; %bb.14:
	v_add_f64 v[49:50], v[35:36], -v[49:50]
	v_add_f64 v[35:36], v[25:26], -v[47:48]
	;; [unrolled: 1-line block ×4, first 2 shown]
	s_movk_i32 s6, 0x90
	v_add_f64 v[68:69], v[39:40], -v[59:60]
	v_add_f64 v[66:67], v[29:30], -v[51:52]
	v_mad_u32_u24 v25, v24, s6, v65
	v_add_f64 v[41:42], v[41:42], -v[63:64]
	v_add_f64 v[61:62], v[43:44], -v[61:62]
	;; [unrolled: 1-line block ×4, first 2 shown]
	ds_write_b128 v25, v[0:3]
	ds_write_b128 v25, v[4:7] offset:16
	ds_write_b128 v25, v[8:11] offset:32
	;; [unrolled: 1-line block ×9, first 2 shown]
.LBB0_15:
	s_or_b64 exec, exec, s[4:5]
	s_movk_i32 s4, 0x96
	v_cmp_gt_u32_e32 vcc, s4, v24
	s_waitcnt lgkmcnt(0)
	s_barrier
	s_and_saveexec_b64 s[4:5], vcc
	s_cbranch_execz .LBB0_17
; %bb.16:
	ds_read_b128 v[0:3], v65
	ds_read_b128 v[4:7], v65 offset:2400
	ds_read_b128 v[8:11], v65 offset:4800
	;; [unrolled: 1-line block ×4, first 2 shown]
.LBB0_17:
	s_or_b64 exec, exec, s[4:5]
	s_movk_i32 s4, 0xcd
	v_mul_lo_u16_sdwa v25, v24, s4 dst_sel:DWORD dst_unused:UNUSED_PAD src0_sel:BYTE_0 src1_sel:DWORD
	v_lshrrev_b16_e32 v57, 11, v25
	v_mul_lo_u16_e32 v25, 10, v57
	v_sub_u16_e32 v58, v24, v25
	v_mov_b32_e32 v25, 6
	v_lshlrev_b32_sdwa v29, v25, v58 dst_sel:DWORD dst_unused:UNUSED_PAD src0_sel:DWORD src1_sel:BYTE_0
	global_load_dwordx4 v[31:34], v29, s[12:13]
	global_load_dwordx4 v[25:28], v29, s[12:13] offset:16
	global_load_dwordx4 v[35:38], v29, s[12:13] offset:32
	;; [unrolled: 1-line block ×3, first 2 shown]
	s_mov_b32 s6, 0x134454ff
	s_mov_b32 s7, 0x3fee6f0e
	;; [unrolled: 1-line block ×8, first 2 shown]
	s_waitcnt vmcnt(0) lgkmcnt(0)
	s_barrier
	v_mul_f64 v[29:30], v[4:5], v[33:34]
	v_mul_f64 v[43:44], v[10:11], v[27:28]
	;; [unrolled: 1-line block ×8, first 2 shown]
	v_fma_f64 v[33:34], v[6:7], v[31:32], -v[29:30]
	v_fma_f64 v[27:28], v[8:9], v[25:26], v[43:44]
	v_fma_f64 v[29:30], v[10:11], v[25:26], -v[45:46]
	v_fma_f64 v[25:26], v[12:13], v[35:36], v[47:48]
	v_fma_f64 v[12:13], v[18:19], v[39:40], -v[49:50]
	v_fma_f64 v[18:19], v[14:15], v[35:36], -v[37:38]
	v_fma_f64 v[31:32], v[4:5], v[31:32], v[51:52]
	v_fma_f64 v[14:15], v[16:17], v[39:40], v[41:42]
	v_add_f64 v[59:60], v[29:30], -v[33:34]
	v_add_f64 v[4:5], v[27:28], v[25:26]
	v_add_f64 v[45:46], v[33:34], v[12:13]
	;; [unrolled: 1-line block ×3, first 2 shown]
	v_add_f64 v[16:17], v[33:34], -v[12:13]
	v_add_f64 v[10:11], v[31:32], v[14:15]
	v_add_f64 v[53:54], v[29:30], -v[18:19]
	v_add_f64 v[39:40], v[31:32], -v[14:15]
	;; [unrolled: 1-line block ×3, first 2 shown]
	v_fma_f64 v[35:36], v[4:5], -0.5, v[0:1]
	v_fma_f64 v[45:46], v[45:46], -0.5, v[2:3]
	;; [unrolled: 1-line block ×3, first 2 shown]
	v_add_f64 v[6:7], v[31:32], -v[27:28]
	v_fma_f64 v[37:38], v[10:11], -0.5, v[0:1]
	v_add_f64 v[8:9], v[14:15], -v[25:26]
	v_add_f64 v[47:48], v[27:28], -v[31:32]
	;; [unrolled: 1-line block ×6, first 2 shown]
	v_fma_f64 v[63:64], v[16:17], s[6:7], v[35:36]
	v_fma_f64 v[66:67], v[53:54], s[8:9], v[37:38]
	;; [unrolled: 1-line block ×4, first 2 shown]
	v_add_f64 v[55:56], v[6:7], v[8:9]
	v_add_f64 v[51:52], v[47:48], v[49:50]
	;; [unrolled: 1-line block ×4, first 2 shown]
	v_fma_f64 v[4:5], v[53:54], s[4:5], v[63:64]
	v_fma_f64 v[6:7], v[16:17], s[4:5], v[66:67]
	;; [unrolled: 1-line block ×4, first 2 shown]
	s_mov_b32 s14, 0x372fe950
	s_mov_b32 s15, 0x3fd3c6ef
	v_fma_f64 v[8:9], v[55:56], s[14:15], v[4:5]
	v_fma_f64 v[4:5], v[51:52], s[14:15], v[6:7]
	;; [unrolled: 1-line block ×4, first 2 shown]
	s_and_saveexec_b64 s[8:9], vcc
	s_cbranch_execz .LBB0_19
; %bb.18:
	v_add_f64 v[2:3], v[2:3], v[33:34]
	v_add_f64 v[0:1], v[0:1], v[31:32]
	v_mul_f64 v[59:60], v[16:17], s[6:7]
	v_mul_f64 v[66:67], v[39:40], s[6:7]
	v_mul_f64 v[61:62], v[53:54], s[4:5]
	v_mul_f64 v[53:54], v[53:54], s[6:7]
	v_mul_f64 v[63:64], v[43:44], s[6:7]
	v_mul_f64 v[33:34], v[43:44], s[4:5]
	v_add_f64 v[2:3], v[2:3], v[29:30]
	v_add_f64 v[0:1], v[0:1], v[27:28]
	v_add_f64 v[27:28], v[35:36], -v[59:60]
	v_add_f64 v[41:42], v[41:42], v[66:67]
	v_mul_f64 v[16:17], v[16:17], s[4:5]
	v_mul_f64 v[39:40], v[39:40], s[4:5]
	v_add_f64 v[43:44], v[45:46], -v[63:64]
	v_add_f64 v[29:30], v[53:54], v[37:38]
	v_add_f64 v[18:19], v[2:3], v[18:19]
	;; [unrolled: 1-line block ×3, first 2 shown]
	v_mul_f64 v[55:56], v[55:56], s[14:15]
	v_mul_f64 v[35:36], v[47:48], s[14:15]
	v_add_f64 v[33:34], v[33:34], v[41:42]
	v_add_f64 v[41:42], v[27:28], -v[61:62]
	v_mul_f64 v[31:32], v[51:52], s[14:15]
	v_mul_f64 v[37:38], v[49:50], s[14:15]
	v_add_f64 v[39:40], v[39:40], v[43:44]
	v_add_f64 v[29:30], v[29:30], -v[16:17]
	v_add_f64 v[27:28], v[18:19], v[12:13]
	v_add_f64 v[25:26], v[0:1], v[14:15]
	;; [unrolled: 1-line block ×4, first 2 shown]
	v_mov_b32_e32 v13, 4
	v_mul_u32_u24_e32 v12, 0x320, v57
	v_add_f64 v[2:3], v[37:38], v[39:40]
	v_add_f64 v[0:1], v[31:32], v[29:30]
	v_lshlrev_b32_sdwa v13, v13, v58 dst_sel:DWORD dst_unused:UNUSED_PAD src0_sel:DWORD src1_sel:BYTE_0
	v_add3_u32 v12, 0, v12, v13
	ds_write_b128 v12, v[25:28]
	ds_write_b128 v12, v[14:17] offset:160
	ds_write_b128 v12, v[0:3] offset:320
	;; [unrolled: 1-line block ×4, first 2 shown]
.LBB0_19:
	s_or_b64 exec, exec, s[8:9]
	v_mov_b32_e32 v0, 41
	v_mul_lo_u16_sdwa v0, v24, v0 dst_sel:DWORD dst_unused:UNUSED_PAD src0_sel:BYTE_0 src1_sel:DWORD
	v_lshrrev_b16_e32 v35, 11, v0
	v_mul_lo_u16_e32 v0, 50, v35
	v_sub_u16_e32 v36, v24, v0
	v_mov_b32_e32 v0, 5
	v_lshlrev_b32_sdwa v16, v0, v36 dst_sel:DWORD dst_unused:UNUSED_PAD src0_sel:DWORD src1_sel:BYTE_0
	s_load_dwordx2 s[2:3], s[2:3], 0x0
	s_waitcnt lgkmcnt(0)
	s_barrier
	global_load_dwordx4 v[0:3], v16, s[12:13] offset:640
	global_load_dwordx4 v[12:15], v16, s[12:13] offset:656
	ds_read_b128 v[16:19], v65 offset:4000
	ds_read_b128 v[25:28], v65 offset:8000
	s_mov_b32 s4, 0xe8584caa
	s_mov_b32 s5, 0xbfebb67a
	;; [unrolled: 1-line block ×4, first 2 shown]
	v_mov_b32_e32 v37, 4
	v_mul_u32_u24_e32 v35, 0x960, v35
	s_waitcnt vmcnt(1) lgkmcnt(1)
	v_mul_f64 v[29:30], v[18:19], v[2:3]
	v_mul_f64 v[2:3], v[16:17], v[2:3]
	s_waitcnt vmcnt(0) lgkmcnt(0)
	v_mul_f64 v[31:32], v[27:28], v[14:15]
	v_mul_f64 v[14:15], v[25:26], v[14:15]
	v_fma_f64 v[16:17], v[16:17], v[0:1], v[29:30]
	v_fma_f64 v[18:19], v[18:19], v[0:1], -v[2:3]
	v_fma_f64 v[25:26], v[25:26], v[12:13], v[31:32]
	v_fma_f64 v[12:13], v[27:28], v[12:13], -v[14:15]
	ds_read_b128 v[0:3], v65
	s_waitcnt lgkmcnt(0)
	s_barrier
	v_add_f64 v[29:30], v[0:1], v[16:17]
	v_add_f64 v[14:15], v[16:17], v[25:26]
	v_add_f64 v[27:28], v[18:19], v[12:13]
	v_add_f64 v[31:32], v[18:19], -v[12:13]
	v_add_f64 v[18:19], v[2:3], v[18:19]
	v_add_f64 v[33:34], v[16:17], -v[25:26]
	v_fma_f64 v[14:15], v[14:15], -0.5, v[0:1]
	v_fma_f64 v[27:28], v[27:28], -0.5, v[2:3]
	v_add_f64 v[0:1], v[29:30], v[25:26]
	v_add_f64 v[2:3], v[18:19], v[12:13]
	v_lshlrev_b32_sdwa v25, v37, v36 dst_sel:DWORD dst_unused:UNUSED_PAD src0_sel:DWORD src1_sel:BYTE_0
	v_add3_u32 v25, 0, v35, v25
	v_fma_f64 v[12:13], v[31:32], s[4:5], v[14:15]
	v_fma_f64 v[16:17], v[31:32], s[6:7], v[14:15]
	;; [unrolled: 1-line block ×4, first 2 shown]
	ds_write_b128 v25, v[0:3]
	ds_write_b128 v25, v[12:15] offset:800
	ds_write_b128 v25, v[16:19] offset:1600
	s_waitcnt lgkmcnt(0)
	s_barrier
	s_and_saveexec_b64 s[4:5], vcc
	s_cbranch_execz .LBB0_21
; %bb.20:
	ds_read_b128 v[0:3], v65
	ds_read_b128 v[12:15], v65 offset:2400
	ds_read_b128 v[16:19], v65 offset:4800
	;; [unrolled: 1-line block ×4, first 2 shown]
.LBB0_21:
	s_or_b64 exec, exec, s[4:5]
	s_waitcnt lgkmcnt(0)
	s_barrier
	s_and_saveexec_b64 s[4:5], vcc
	s_cbranch_execz .LBB0_23
; %bb.22:
	v_lshlrev_b32_e32 v25, 2, v24
	v_add_u32_e32 v26, 0xfffffda8, v25
	v_cndmask_b32_e32 v25, v26, v25, vcc
	v_mov_b32_e32 v26, 0
	v_lshlrev_b64 v[25:26], 4, v[25:26]
	v_mov_b32_e32 v27, s13
	v_add_co_u32_e32 v41, vcc, s12, v25
	v_addc_co_u32_e32 v42, vcc, v27, v26, vcc
	global_load_dwordx4 v[25:28], v[41:42], off offset:2256
	global_load_dwordx4 v[29:32], v[41:42], off offset:2240
	;; [unrolled: 1-line block ×4, first 2 shown]
	s_mov_b32 s8, 0x134454ff
	s_mov_b32 s9, 0x3fee6f0e
	s_mov_b32 s17, 0xbfee6f0e
	s_mov_b32 s16, s8
	s_mov_b32 s14, 0x4755a5e
	s_mov_b32 s15, 0xbfe2cf23
	s_mov_b32 s19, 0x3fe2cf23
	s_mov_b32 s18, s14
	s_mov_b32 s6, 0x372fe950
	s_mov_b32 s7, 0x3fd3c6ef
	s_waitcnt vmcnt(3)
	v_mul_f64 v[41:42], v[16:17], v[27:28]
	s_waitcnt vmcnt(2)
	v_mul_f64 v[43:44], v[12:13], v[31:32]
	;; [unrolled: 2-line block ×4, first 2 shown]
	v_mul_f64 v[27:28], v[18:19], v[27:28]
	v_mul_f64 v[35:36], v[6:7], v[35:36]
	;; [unrolled: 1-line block ×4, first 2 shown]
	v_fma_f64 v[18:19], v[18:19], v[25:26], -v[41:42]
	v_fma_f64 v[14:15], v[14:15], v[29:30], -v[43:44]
	;; [unrolled: 1-line block ×4, first 2 shown]
	v_fma_f64 v[16:17], v[16:17], v[25:26], v[27:28]
	v_fma_f64 v[4:5], v[4:5], v[33:34], v[35:36]
	;; [unrolled: 1-line block ×4, first 2 shown]
	v_add_f64 v[25:26], v[18:19], -v[14:15]
	v_add_f64 v[35:36], v[14:15], -v[18:19]
	;; [unrolled: 1-line block ×3, first 2 shown]
	v_add_f64 v[31:32], v[14:15], v[10:11]
	v_add_f64 v[37:38], v[10:11], -v[6:7]
	v_add_f64 v[39:40], v[18:19], v[6:7]
	v_add_f64 v[47:48], v[12:13], v[8:9]
	;; [unrolled: 1-line block ×4, first 2 shown]
	v_add_f64 v[33:34], v[12:13], -v[8:9]
	v_add_f64 v[43:44], v[16:17], -v[12:13]
	;; [unrolled: 1-line block ×3, first 2 shown]
	v_add_f64 v[12:13], v[0:1], v[12:13]
	v_add_f64 v[29:30], v[16:17], -v[4:5]
	v_add_f64 v[45:46], v[4:5], -v[8:9]
	;; [unrolled: 1-line block ×3, first 2 shown]
	v_add_f64 v[25:26], v[25:26], v[27:28]
	v_fma_f64 v[27:28], v[31:32], -0.5, v[2:3]
	v_add_f64 v[31:32], v[35:36], v[37:38]
	v_fma_f64 v[2:3], v[39:40], -0.5, v[2:3]
	v_fma_f64 v[37:38], v[47:48], -0.5, v[0:1]
	;; [unrolled: 1-line block ×3, first 2 shown]
	v_add_f64 v[49:50], v[18:19], -v[6:7]
	v_add_f64 v[18:19], v[41:42], v[18:19]
	v_add_f64 v[12:13], v[12:13], v[16:17]
	v_add_f64 v[53:54], v[8:9], -v[4:5]
	v_add_f64 v[35:36], v[43:44], v[45:46]
	v_fma_f64 v[16:17], v[29:30], s[8:9], v[27:28]
	v_fma_f64 v[27:28], v[29:30], s[16:17], v[27:28]
	;; [unrolled: 1-line block ×6, first 2 shown]
	v_add_f64 v[6:7], v[18:19], v[6:7]
	v_fma_f64 v[18:19], v[49:50], s[16:17], v[37:38]
	v_fma_f64 v[37:38], v[49:50], s[8:9], v[37:38]
	v_add_f64 v[4:5], v[12:13], v[4:5]
	v_add_f64 v[39:40], v[51:52], v[53:54]
	v_fma_f64 v[12:13], v[33:34], s[14:15], v[16:17]
	v_fma_f64 v[16:17], v[33:34], s[18:19], v[27:28]
	v_fma_f64 v[27:28], v[29:30], s[14:15], v[41:42]
	v_fma_f64 v[29:30], v[29:30], s[18:19], v[2:3]
	v_fma_f64 v[41:42], v[49:50], s[14:15], v[0:1]
	v_fma_f64 v[37:38], v[14:15], s[14:15], v[37:38]
	v_fma_f64 v[33:34], v[14:15], s[18:19], v[18:19]
	v_fma_f64 v[43:44], v[49:50], s[18:19], v[43:44]
	v_add_f64 v[2:3], v[6:7], v[10:11]
	v_add_f64 v[0:1], v[4:5], v[8:9]
	v_fma_f64 v[10:11], v[25:26], s[6:7], v[16:17]
	v_fma_f64 v[18:19], v[31:32], s[6:7], v[29:30]
	;; [unrolled: 1-line block ×8, first 2 shown]
	ds_write_b128 v65, v[0:3]
	ds_write_b128 v65, v[16:19] offset:2400
	ds_write_b128 v65, v[8:11] offset:4800
	;; [unrolled: 1-line block ×4, first 2 shown]
.LBB0_23:
	s_or_b64 exec, exec, s[4:5]
	s_waitcnt lgkmcnt(0)
	s_barrier
	ds_read_b128 v[0:3], v65
	s_add_u32 s6, s12, 0x2e40
	v_lshlrev_b32_e32 v4, 4, v24
	s_addc_u32 s7, s13, 0
	v_sub_u32_e32 v8, 0, v4
	v_cmp_ne_u32_e32 vcc, 0, v24
                                        ; implicit-def: $vgpr6_vgpr7
                                        ; implicit-def: $vgpr4_vgpr5
	s_and_saveexec_b64 s[4:5], vcc
	s_xor_b64 s[4:5], exec, s[4:5]
	s_cbranch_execz .LBB0_25
; %bb.24:
	v_mov_b32_e32 v25, 0
	v_lshlrev_b64 v[4:5], 4, v[24:25]
	v_mov_b32_e32 v6, s7
	v_add_co_u32_e32 v4, vcc, s6, v4
	v_addc_co_u32_e32 v5, vcc, v6, v5, vcc
	global_load_dwordx4 v[9:12], v[4:5], off
	ds_read_b128 v[4:7], v8 offset:12000
	s_waitcnt lgkmcnt(0)
	v_add_f64 v[13:14], v[0:1], -v[4:5]
	v_add_f64 v[15:16], v[2:3], v[6:7]
	v_add_f64 v[2:3], v[2:3], -v[6:7]
	v_add_f64 v[0:1], v[0:1], v[4:5]
	v_mul_f64 v[6:7], v[13:14], 0.5
	v_mul_f64 v[13:14], v[15:16], 0.5
	;; [unrolled: 1-line block ×3, first 2 shown]
	s_waitcnt vmcnt(0)
	v_mul_f64 v[4:5], v[6:7], v[11:12]
	v_fma_f64 v[15:16], v[13:14], v[11:12], v[2:3]
	v_fma_f64 v[2:3], v[13:14], v[11:12], -v[2:3]
	v_fma_f64 v[11:12], v[0:1], 0.5, v[4:5]
	v_fma_f64 v[0:1], v[0:1], 0.5, -v[4:5]
	v_fma_f64 v[15:16], -v[9:10], v[6:7], v[15:16]
	v_fma_f64 v[2:3], -v[9:10], v[6:7], v[2:3]
	ds_write_b64 v65, v[15:16] offset:8
	ds_write_b64 v8, v[2:3] offset:12008
	v_fma_f64 v[4:5], v[13:14], v[9:10], v[11:12]
	v_fma_f64 v[6:7], -v[13:14], v[9:10], v[0:1]
                                        ; implicit-def: $vgpr0_vgpr1
.LBB0_25:
	s_andn2_saveexec_b64 s[4:5], s[4:5]
	s_cbranch_execz .LBB0_27
; %bb.26:
	s_mov_b32 s8, 0
	s_mov_b32 s9, s8
	v_mov_b32_e32 v10, s9
	s_waitcnt lgkmcnt(0)
	v_add_f64 v[4:5], v[0:1], v[2:3]
	v_mov_b32_e32 v9, s8
	v_add_f64 v[6:7], v[0:1], -v[2:3]
	ds_write_b64 v65, v[9:10] offset:8
	ds_write_b64 v8, v[9:10] offset:12008
	v_mov_b32_e32 v2, 0
	ds_read_b64 v[0:1], v2 offset:6008
	s_waitcnt lgkmcnt(0)
	v_xor_b32_e32 v1, 0x80000000, v1
	ds_write_b64 v2, v[0:1] offset:6008
.LBB0_27:
	s_or_b64 exec, exec, s[4:5]
	s_movk_i32 s4, 0x7d
	v_cmp_gt_u32_e32 vcc, s4, v24
	ds_write_b64 v65, v[4:5]
	ds_write_b64 v8, v[6:7] offset:12000
	s_and_saveexec_b64 s[4:5], vcc
	s_cbranch_execz .LBB0_29
; %bb.28:
	v_mov_b32_e32 v25, 0
	s_waitcnt lgkmcnt(2)
	v_lshlrev_b64 v[0:1], 4, v[24:25]
	v_mov_b32_e32 v2, s7
	v_add_co_u32_e32 v0, vcc, s6, v0
	v_addc_co_u32_e32 v1, vcc, v2, v1, vcc
	global_load_dwordx4 v[0:3], v[0:1], off offset:4000
	ds_read_b128 v[4:7], v65 offset:4000
	ds_read_b128 v[9:12], v8 offset:8000
	s_waitcnt lgkmcnt(0)
	v_add_f64 v[13:14], v[4:5], -v[9:10]
	v_add_f64 v[15:16], v[6:7], v[11:12]
	v_add_f64 v[6:7], v[6:7], -v[11:12]
	v_add_f64 v[4:5], v[4:5], v[9:10]
	v_mul_f64 v[11:12], v[13:14], 0.5
	v_mul_f64 v[13:14], v[15:16], 0.5
	;; [unrolled: 1-line block ×3, first 2 shown]
	s_waitcnt vmcnt(0)
	v_mul_f64 v[9:10], v[11:12], v[2:3]
	v_fma_f64 v[15:16], v[13:14], v[2:3], v[6:7]
	v_fma_f64 v[2:3], v[13:14], v[2:3], -v[6:7]
	v_fma_f64 v[6:7], v[4:5], 0.5, v[9:10]
	v_fma_f64 v[9:10], v[4:5], 0.5, -v[9:10]
	v_fma_f64 v[4:5], -v[0:1], v[11:12], v[15:16]
	v_fma_f64 v[11:12], -v[0:1], v[11:12], v[2:3]
	v_fma_f64 v[2:3], v[13:14], v[0:1], v[6:7]
	v_fma_f64 v[9:10], -v[13:14], v[0:1], v[9:10]
	ds_write_b128 v65, v[2:5] offset:4000
	ds_write_b128 v8, v[9:12] offset:8000
.LBB0_29:
	s_or_b64 exec, exec, s[4:5]
	s_waitcnt lgkmcnt(0)
	s_barrier
	s_and_saveexec_b64 s[4:5], s[0:1]
	s_cbranch_execz .LBB0_32
; %bb.30:
	v_mul_lo_u32 v2, s3, v22
	v_mul_lo_u32 v3, s2, v23
	v_mad_u64_u32 v[0:1], s[0:1], s2, v22, 0
	v_mov_b32_e32 v6, s11
	v_lshl_add_u32 v12, v24, 4, 0
	v_add3_u32 v1, v1, v3, v2
	v_lshlrev_b64 v[0:1], 4, v[0:1]
	v_mov_b32_e32 v25, 0
	v_add_co_u32_e32 v0, vcc, s10, v0
	v_addc_co_u32_e32 v8, vcc, v6, v1, vcc
	v_lshlrev_b64 v[6:7], 4, v[20:21]
	ds_read_b128 v[2:5], v12
	v_add_co_u32_e32 v1, vcc, v0, v6
	v_addc_co_u32_e32 v0, vcc, v8, v7, vcc
	v_lshlrev_b64 v[6:7], 4, v[24:25]
	s_movk_i32 s0, 0xf9
	v_add_co_u32_e32 v10, vcc, v1, v6
	v_addc_co_u32_e32 v11, vcc, v0, v7, vcc
	ds_read_b128 v[6:9], v12 offset:4000
	s_waitcnt lgkmcnt(1)
	global_store_dwordx4 v[10:11], v[2:5], off
	s_nop 0
	v_add_u32_e32 v2, 0xfa, v24
	v_mov_b32_e32 v3, v25
	v_lshlrev_b64 v[2:3], 4, v[2:3]
	v_add_co_u32_e32 v2, vcc, v1, v2
	v_addc_co_u32_e32 v3, vcc, v0, v3, vcc
	s_waitcnt lgkmcnt(0)
	global_store_dwordx4 v[2:3], v[6:9], off
	ds_read_b128 v[2:5], v12 offset:8000
	v_add_u32_e32 v6, 0x1f4, v24
	v_mov_b32_e32 v7, v25
	v_lshlrev_b64 v[6:7], 4, v[6:7]
	v_add_co_u32_e32 v6, vcc, v1, v6
	v_addc_co_u32_e32 v7, vcc, v0, v7, vcc
	v_cmp_eq_u32_e32 vcc, s0, v24
	s_waitcnt lgkmcnt(0)
	global_store_dwordx4 v[6:7], v[2:5], off
	s_and_b64 exec, exec, vcc
	s_cbranch_execz .LBB0_32
; %bb.31:
	ds_read_b128 v[2:5], v25 offset:12000
	v_add_co_u32_e32 v6, vcc, 0x2000, v1
	v_addc_co_u32_e32 v7, vcc, 0, v0, vcc
	s_waitcnt lgkmcnt(0)
	global_store_dwordx4 v[6:7], v[2:5], off offset:3808
.LBB0_32:
	s_endpgm
	.section	.rodata,"a",@progbits
	.p2align	6, 0x0
	.amdhsa_kernel fft_rtc_back_len750_factors_10_5_3_5_wgs_250_tpt_250_halfLds_dp_op_CI_CI_unitstride_sbrr_R2C_dirReg
		.amdhsa_group_segment_fixed_size 0
		.amdhsa_private_segment_fixed_size 0
		.amdhsa_kernarg_size 104
		.amdhsa_user_sgpr_count 6
		.amdhsa_user_sgpr_private_segment_buffer 1
		.amdhsa_user_sgpr_dispatch_ptr 0
		.amdhsa_user_sgpr_queue_ptr 0
		.amdhsa_user_sgpr_kernarg_segment_ptr 1
		.amdhsa_user_sgpr_dispatch_id 0
		.amdhsa_user_sgpr_flat_scratch_init 0
		.amdhsa_user_sgpr_private_segment_size 0
		.amdhsa_uses_dynamic_stack 0
		.amdhsa_system_sgpr_private_segment_wavefront_offset 0
		.amdhsa_system_sgpr_workgroup_id_x 1
		.amdhsa_system_sgpr_workgroup_id_y 0
		.amdhsa_system_sgpr_workgroup_id_z 0
		.amdhsa_system_sgpr_workgroup_info 0
		.amdhsa_system_vgpr_workitem_id 0
		.amdhsa_next_free_vgpr 74
		.amdhsa_next_free_sgpr 28
		.amdhsa_reserve_vcc 1
		.amdhsa_reserve_flat_scratch 0
		.amdhsa_float_round_mode_32 0
		.amdhsa_float_round_mode_16_64 0
		.amdhsa_float_denorm_mode_32 3
		.amdhsa_float_denorm_mode_16_64 3
		.amdhsa_dx10_clamp 1
		.amdhsa_ieee_mode 1
		.amdhsa_fp16_overflow 0
		.amdhsa_exception_fp_ieee_invalid_op 0
		.amdhsa_exception_fp_denorm_src 0
		.amdhsa_exception_fp_ieee_div_zero 0
		.amdhsa_exception_fp_ieee_overflow 0
		.amdhsa_exception_fp_ieee_underflow 0
		.amdhsa_exception_fp_ieee_inexact 0
		.amdhsa_exception_int_div_zero 0
	.end_amdhsa_kernel
	.text
.Lfunc_end0:
	.size	fft_rtc_back_len750_factors_10_5_3_5_wgs_250_tpt_250_halfLds_dp_op_CI_CI_unitstride_sbrr_R2C_dirReg, .Lfunc_end0-fft_rtc_back_len750_factors_10_5_3_5_wgs_250_tpt_250_halfLds_dp_op_CI_CI_unitstride_sbrr_R2C_dirReg
                                        ; -- End function
	.section	.AMDGPU.csdata,"",@progbits
; Kernel info:
; codeLenInByte = 5952
; NumSgprs: 32
; NumVgprs: 74
; ScratchSize: 0
; MemoryBound: 0
; FloatMode: 240
; IeeeMode: 1
; LDSByteSize: 0 bytes/workgroup (compile time only)
; SGPRBlocks: 3
; VGPRBlocks: 18
; NumSGPRsForWavesPerEU: 32
; NumVGPRsForWavesPerEU: 74
; Occupancy: 3
; WaveLimiterHint : 1
; COMPUTE_PGM_RSRC2:SCRATCH_EN: 0
; COMPUTE_PGM_RSRC2:USER_SGPR: 6
; COMPUTE_PGM_RSRC2:TRAP_HANDLER: 0
; COMPUTE_PGM_RSRC2:TGID_X_EN: 1
; COMPUTE_PGM_RSRC2:TGID_Y_EN: 0
; COMPUTE_PGM_RSRC2:TGID_Z_EN: 0
; COMPUTE_PGM_RSRC2:TIDIG_COMP_CNT: 0
	.type	__hip_cuid_8ee492179d2e136d,@object ; @__hip_cuid_8ee492179d2e136d
	.section	.bss,"aw",@nobits
	.globl	__hip_cuid_8ee492179d2e136d
__hip_cuid_8ee492179d2e136d:
	.byte	0                               ; 0x0
	.size	__hip_cuid_8ee492179d2e136d, 1

	.ident	"AMD clang version 19.0.0git (https://github.com/RadeonOpenCompute/llvm-project roc-6.4.0 25133 c7fe45cf4b819c5991fe208aaa96edf142730f1d)"
	.section	".note.GNU-stack","",@progbits
	.addrsig
	.addrsig_sym __hip_cuid_8ee492179d2e136d
	.amdgpu_metadata
---
amdhsa.kernels:
  - .args:
      - .actual_access:  read_only
        .address_space:  global
        .offset:         0
        .size:           8
        .value_kind:     global_buffer
      - .offset:         8
        .size:           8
        .value_kind:     by_value
      - .actual_access:  read_only
        .address_space:  global
        .offset:         16
        .size:           8
        .value_kind:     global_buffer
      - .actual_access:  read_only
        .address_space:  global
        .offset:         24
        .size:           8
        .value_kind:     global_buffer
      - .actual_access:  read_only
        .address_space:  global
        .offset:         32
        .size:           8
        .value_kind:     global_buffer
      - .offset:         40
        .size:           8
        .value_kind:     by_value
      - .actual_access:  read_only
        .address_space:  global
        .offset:         48
        .size:           8
        .value_kind:     global_buffer
      - .actual_access:  read_only
        .address_space:  global
        .offset:         56
        .size:           8
        .value_kind:     global_buffer
      - .offset:         64
        .size:           4
        .value_kind:     by_value
      - .actual_access:  read_only
        .address_space:  global
        .offset:         72
        .size:           8
        .value_kind:     global_buffer
      - .actual_access:  read_only
        .address_space:  global
        .offset:         80
        .size:           8
        .value_kind:     global_buffer
      - .actual_access:  read_only
        .address_space:  global
        .offset:         88
        .size:           8
        .value_kind:     global_buffer
      - .actual_access:  write_only
        .address_space:  global
        .offset:         96
        .size:           8
        .value_kind:     global_buffer
    .group_segment_fixed_size: 0
    .kernarg_segment_align: 8
    .kernarg_segment_size: 104
    .language:       OpenCL C
    .language_version:
      - 2
      - 0
    .max_flat_workgroup_size: 250
    .name:           fft_rtc_back_len750_factors_10_5_3_5_wgs_250_tpt_250_halfLds_dp_op_CI_CI_unitstride_sbrr_R2C_dirReg
    .private_segment_fixed_size: 0
    .sgpr_count:     32
    .sgpr_spill_count: 0
    .symbol:         fft_rtc_back_len750_factors_10_5_3_5_wgs_250_tpt_250_halfLds_dp_op_CI_CI_unitstride_sbrr_R2C_dirReg.kd
    .uniform_work_group_size: 1
    .uses_dynamic_stack: false
    .vgpr_count:     74
    .vgpr_spill_count: 0
    .wavefront_size: 64
amdhsa.target:   amdgcn-amd-amdhsa--gfx906
amdhsa.version:
  - 1
  - 2
...

	.end_amdgpu_metadata
